;; amdgpu-corpus repo=ROCm/rocFFT kind=compiled arch=gfx950 opt=O3
	.text
	.amdgcn_target "amdgcn-amd-amdhsa--gfx950"
	.amdhsa_code_object_version 6
	.protected	bluestein_single_fwd_len1125_dim1_sp_op_CI_CI ; -- Begin function bluestein_single_fwd_len1125_dim1_sp_op_CI_CI
	.globl	bluestein_single_fwd_len1125_dim1_sp_op_CI_CI
	.p2align	8
	.type	bluestein_single_fwd_len1125_dim1_sp_op_CI_CI,@function
bluestein_single_fwd_len1125_dim1_sp_op_CI_CI: ; @bluestein_single_fwd_len1125_dim1_sp_op_CI_CI
; %bb.0:
	s_load_dwordx4 s[12:15], s[0:1], 0x28
	v_mul_u32_u24_e32 v1, 0x124, v0
	v_add_u32_sdwa v34, s2, v1 dst_sel:DWORD dst_unused:UNUSED_PAD src0_sel:DWORD src1_sel:WORD_1
	v_mov_b32_e32 v35, 0
	s_waitcnt lgkmcnt(0)
	v_cmp_gt_u64_e32 vcc, s[12:13], v[34:35]
	s_and_saveexec_b64 s[2:3], vcc
	s_cbranch_execz .LBB0_18
; %bb.1:
	s_load_dwordx4 s[4:7], s[0:1], 0x18
	s_load_dwordx4 s[8:11], s[0:1], 0x0
	v_mov_b32_e32 v2, s14
	v_mov_b32_e32 v3, s15
	s_movk_i32 s2, 0xe1
	s_waitcnt lgkmcnt(0)
	s_load_dwordx4 s[12:15], s[4:5], 0x0
	v_mul_lo_u16_sdwa v1, v1, s2 dst_sel:DWORD dst_unused:UNUSED_PAD src0_sel:WORD_1 src1_sel:DWORD
	v_sub_u16_e32 v60, v0, v1
	v_mov_b32_e32 v14, 0x708
	v_lshlrev_b32_e32 v32, 3, v60
	s_waitcnt lgkmcnt(0)
	v_mad_u64_u32 v[0:1], s[2:3], s14, v34, 0
	v_mov_b32_e32 v4, v1
	v_mad_u64_u32 v[4:5], s[2:3], s15, v34, v[4:5]
	v_mov_b32_e32 v1, v4
	v_mad_u64_u32 v[4:5], s[2:3], s12, v60, 0
	v_mov_b32_e32 v6, v5
	v_mad_u64_u32 v[6:7], s[2:3], s13, v60, v[6:7]
	v_mov_b32_e32 v5, v6
	v_lshl_add_u64 v[0:1], v[0:1], 3, v[2:3]
	v_lshl_add_u64 v[0:1], v[4:5], 3, v[0:1]
	global_load_dwordx2 v[2:3], v[0:1], off
	v_mad_u64_u32 v[0:1], s[2:3], s12, v14, v[0:1]
	s_mul_i32 s4, s13, 0x708
	v_add_u32_e32 v1, s4, v1
	v_mad_u64_u32 v[6:7], s[2:3], s12, v14, v[0:1]
	v_add_u32_e32 v7, s4, v7
	v_mov_b32_e32 v33, v35
	v_mad_u64_u32 v[8:9], s[2:3], s12, v14, v[6:7]
	v_lshl_add_u64 v[4:5], s[8:9], 0, v[32:33]
	s_movk_i32 s2, 0x1000
	global_load_dwordx2 v[44:45], v32, s[8:9]
	global_load_dwordx2 v[42:43], v32, s[8:9] offset:1800
	global_load_dwordx2 v[38:39], v32, s[8:9] offset:3600
	v_add_co_u32_e32 v4, vcc, s2, v4
	global_load_dwordx2 v[0:1], v[0:1], off
	s_nop 0
	v_addc_co_u32_e32 v5, vcc, 0, v5, vcc
	v_add_u32_e32 v9, s4, v9
	global_load_dwordx2 v[10:11], v[6:7], off
	global_load_dwordx2 v[12:13], v[8:9], off
	global_load_dwordx2 v[40:41], v[4:5], off offset:1304
	v_mad_u64_u32 v[6:7], s[2:3], s12, v14, v[8:9]
	v_add_u32_e32 v7, s4, v7
	global_load_dwordx2 v[36:37], v[4:5], off offset:3104
	global_load_dwordx2 v[8:9], v[6:7], off
	v_mul_lo_u16_e32 v4, 5, v60
	v_lshlrev_b32_e32 v35, 3, v4
	v_add_u32_e32 v28, 0xe00, v32
	s_load_dwordx4 s[4:7], s[6:7], 0x0
	s_mov_b32 s14, 0x3f737871
	s_mov_b32 s16, 0x3f167918
	;; [unrolled: 1-line block ×3, first 2 shown]
	s_load_dwordx2 s[12:13], s[0:1], 0x38
	s_movk_i32 s0, 0x95
	v_cmp_lt_u16_e64 s[0:1], s0, v60
	s_waitcnt vmcnt(8)
	v_mul_f32_e32 v4, v3, v45
	v_mul_f32_e32 v5, v2, v45
	v_fmac_f32_e32 v4, v2, v44
	v_fma_f32 v5, v3, v44, -v5
	s_waitcnt vmcnt(5)
	v_mul_f32_e32 v2, v1, v43
	v_mul_f32_e32 v3, v0, v43
	v_fmac_f32_e32 v2, v0, v42
	v_fma_f32 v3, v1, v42, -v3
	ds_write2_b64 v32, v[4:5], v[2:3] offset1:225
	s_waitcnt vmcnt(4)
	v_mul_f32_e32 v0, v11, v39
	v_mul_f32_e32 v1, v10, v39
	s_waitcnt vmcnt(2)
	v_mul_f32_e32 v2, v13, v41
	v_mul_f32_e32 v3, v12, v41
	v_fmac_f32_e32 v0, v10, v38
	v_fma_f32 v1, v11, v38, -v1
	v_fmac_f32_e32 v2, v12, v40
	v_fma_f32 v3, v13, v40, -v3
	ds_write2_b64 v28, v[0:1], v[2:3] offset0:2 offset1:227
	s_waitcnt vmcnt(0)
	v_mul_f32_e32 v0, v9, v37
	v_mul_f32_e32 v1, v8, v37
	v_fmac_f32_e32 v0, v8, v36
	v_fma_f32 v1, v9, v36, -v1
	ds_write_b64 v32, v[0:1] offset:7200
	s_waitcnt lgkmcnt(0)
	s_barrier
	ds_read2_b64 v[0:3], v32 offset1:225
	ds_read2_b64 v[4:7], v28 offset0:2 offset1:227
	ds_read_b64 v[8:9], v32 offset:7200
	s_waitcnt lgkmcnt(0)
	s_barrier
	v_pk_add_f32 v[10:11], v[0:1], v[2:3]
	v_pk_add_f32 v[12:13], v[4:5], v[6:7]
	v_pk_add_f32 v[14:15], v[2:3], v[8:9] neg_lo:[0,1] neg_hi:[0,1]
	v_pk_add_f32 v[16:17], v[4:5], v[6:7] neg_lo:[0,1] neg_hi:[0,1]
	;; [unrolled: 1-line block ×3, first 2 shown]
	v_pk_add_f32 v[22:23], v[2:3], v[8:9]
	v_pk_add_f32 v[2:3], v[4:5], v[2:3] neg_lo:[0,1] neg_hi:[0,1]
	v_pk_add_f32 v[4:5], v[10:11], v[4:5]
	v_pk_fma_f32 v[10:11], v[12:13], 0.5, v[0:1] op_sel_hi:[1,0,1] neg_lo:[1,0,0] neg_hi:[1,0,0]
	v_pk_mul_f32 v[12:13], v[14:15], s[14:15] op_sel_hi:[1,0]
	v_pk_add_f32 v[20:21], v[8:9], v[6:7] neg_lo:[0,1] neg_hi:[0,1]
	v_pk_add_f32 v[24:25], v[6:7], v[8:9] neg_lo:[0,1] neg_hi:[0,1]
	v_pk_mul_f32 v[26:27], v[16:17], s[16:17] op_sel_hi:[1,0]
	v_pk_add_f32 v[4:5], v[4:5], v[6:7]
	v_pk_add_f32 v[6:7], v[10:11], v[12:13] op_sel:[0,1] op_sel_hi:[1,0]
	v_pk_add_f32 v[10:11], v[10:11], v[12:13] op_sel:[0,1] op_sel_hi:[1,0] neg_lo:[0,1] neg_hi:[0,1]
	v_pk_add_f32 v[4:5], v[4:5], v[8:9]
	v_pk_add_f32 v[8:9], v[10:11], v[26:27] op_sel:[0,1] op_sel_hi:[1,0] neg_lo:[0,1] neg_hi:[0,1]
	v_pk_add_f32 v[6:7], v[6:7], v[26:27] op_sel:[0,1] op_sel_hi:[1,0]
	v_pk_add_f32 v[18:19], v[18:19], v[20:21]
	v_mov_b32_e32 v10, v6
	v_mov_b32_e32 v11, v9
	v_pk_fma_f32 v[10:11], v[18:19], s[2:3], v[10:11] op_sel_hi:[1,0,1]
	v_pk_fma_f32 v[0:1], v[22:23], 0.5, v[0:1] op_sel_hi:[1,0,1] neg_lo:[1,0,0] neg_hi:[1,0,0]
	ds_write2_b64 v35, v[4:5], v[10:11] offset1:1
	v_pk_mul_f32 v[4:5], v[16:17], s[14:15] op_sel_hi:[1,0]
	v_pk_mul_f32 v[10:11], v[14:15], s[16:17] op_sel_hi:[1,0]
	v_pk_add_f32 v[12:13], v[0:1], v[4:5] op_sel:[0,1] op_sel_hi:[1,0] neg_lo:[0,1] neg_hi:[0,1]
	v_pk_add_f32 v[0:1], v[0:1], v[4:5] op_sel:[0,1] op_sel_hi:[1,0]
	v_pk_add_f32 v[4:5], v[12:13], v[10:11] op_sel:[0,1] op_sel_hi:[1,0]
	v_pk_add_f32 v[0:1], v[0:1], v[10:11] op_sel:[0,1] op_sel_hi:[1,0] neg_lo:[0,1] neg_hi:[0,1]
	v_pk_add_f32 v[2:3], v[2:3], v[24:25]
	v_mov_b32_e32 v10, v4
	v_mov_b32_e32 v11, v1
	;; [unrolled: 1-line block ×3, first 2 shown]
	v_pk_fma_f32 v[10:11], v[2:3], s[2:3], v[10:11] op_sel_hi:[1,0,1]
	v_pk_fma_f32 v[0:1], v[2:3], s[2:3], v[0:1] op_sel_hi:[1,0,1]
	v_mov_b32_e32 v9, v7
	ds_write2_b64 v35, v[10:11], v[0:1] offset0:2 offset1:3
	v_pk_fma_f32 v[0:1], v[18:19], s[2:3], v[8:9] op_sel_hi:[1,0,1]
	s_movk_i32 s3, 0xcd
	ds_write_b64 v35, v[0:1] offset:32
	v_mul_lo_u16_sdwa v0, v60, s3 dst_sel:DWORD dst_unused:UNUSED_PAD src0_sel:BYTE_0 src1_sel:DWORD
	v_lshrrev_b16_e32 v33, 10, v0
	v_mul_lo_u16_e32 v0, 5, v33
	v_sub_u16_e32 v0, v60, v0
	v_and_b32_e32 v47, 0xff, v0
	v_lshlrev_b32_e32 v8, 5, v47
	s_waitcnt lgkmcnt(0)
	s_barrier
	global_load_dwordx4 v[0:3], v8, s[10:11] offset:16
	global_load_dwordx4 v[4:7], v8, s[10:11]
	ds_read2_b64 v[8:11], v32 offset1:225
	ds_read2_b64 v[12:15], v28 offset0:2 offset1:227
	ds_read_b64 v[16:17], v32 offset:7200
	s_waitcnt lgkmcnt(0)
	s_barrier
	s_waitcnt vmcnt(1)
	v_mov_b32_e32 v48, v3
	v_mov_b32_e32 v46, v0
	s_waitcnt vmcnt(0)
	v_mov_b32_e32 v52, v7
	v_mov_b32_e32 v50, v4
	v_pk_mul_f32 v[18:19], v[10:11], v[4:5] op_sel:[0,1]
	v_pk_mul_f32 v[20:21], v[14:15], v[0:1] op_sel:[0,1]
	v_pk_fma_f32 v[22:23], v[10:11], v[50:51], v[18:19] op_sel:[0,0,1] op_sel_hi:[1,1,0] neg_lo:[0,0,1] neg_hi:[0,0,1]
	v_pk_fma_f32 v[10:11], v[10:11], v[4:5], v[18:19] op_sel:[0,0,1] op_sel_hi:[1,0,0]
	v_pk_mul_f32 v[18:19], v[12:13], v[52:53] op_sel_hi:[1,0]
	v_pk_fma_f32 v[24:25], v[14:15], v[46:47], v[20:21] op_sel:[0,0,1] op_sel_hi:[1,1,0] neg_lo:[0,0,1] neg_hi:[0,0,1]
	v_pk_fma_f32 v[14:15], v[14:15], v[0:1], v[20:21] op_sel:[0,0,1] op_sel_hi:[1,0,0]
	v_pk_mul_f32 v[20:21], v[16:17], v[48:49] op_sel_hi:[1,0]
	v_pk_fma_f32 v[26:27], v[12:13], v[6:7], v[18:19] op_sel:[0,0,1] op_sel_hi:[1,1,0] neg_lo:[0,0,1] neg_hi:[0,0,1]
	v_pk_fma_f32 v[12:13], v[12:13], v[6:7], v[18:19] op_sel:[0,0,1] op_sel_hi:[1,0,0]
	v_pk_fma_f32 v[28:29], v[16:17], v[2:3], v[20:21] op_sel:[0,0,1] op_sel_hi:[1,1,0] neg_lo:[0,0,1] neg_hi:[0,0,1]
	v_pk_fma_f32 v[16:17], v[16:17], v[2:3], v[20:21] op_sel:[0,0,1] op_sel_hi:[1,0,0]
	v_mov_b32_e32 v23, v11
	v_mov_b32_e32 v25, v15
	;; [unrolled: 1-line block ×12, first 2 shown]
	v_pk_add_f32 v[20:21], v[8:9], v[22:23]
	v_pk_add_f32 v[18:19], v[22:23], v[26:27] neg_lo:[0,1] neg_hi:[0,1]
	v_pk_add_f32 v[30:31], v[10:11], v[16:17] neg_lo:[0,1] neg_hi:[0,1]
	;; [unrolled: 1-line block ×6, first 2 shown]
	v_pk_add_f32 v[54:55], v[26:27], v[24:25]
	v_pk_add_f32 v[22:23], v[22:23], v[28:29]
	;; [unrolled: 1-line block ×3, first 2 shown]
	v_pk_fma_f32 v[16:17], v[54:55], 0.5, v[8:9] op_sel_hi:[1,0,1] neg_lo:[1,0,0] neg_hi:[1,0,0]
	v_pk_fma_f32 v[8:9], v[22:23], 0.5, v[8:9] op_sel_hi:[1,0,1] neg_lo:[1,0,0] neg_hi:[1,0,0]
	v_pk_add_f32 v[10:11], v[10:11], v[14:15]
	v_pk_fma_f32 v[14:15], v[30:31], s[14:15], v[16:17] op_sel_hi:[1,0,1] neg_lo:[1,0,0] neg_hi:[1,0,0]
	v_pk_fma_f32 v[16:17], v[30:31], s[14:15], v[16:17] op_sel_hi:[1,0,1]
	v_pk_fma_f32 v[18:19], v[12:13], s[14:15], v[8:9] op_sel_hi:[1,0,1] neg_lo:[1,0,0] neg_hi:[1,0,0]
	v_pk_fma_f32 v[8:9], v[12:13], s[14:15], v[8:9] op_sel_hi:[1,0,1]
	v_pk_fma_f32 v[22:23], v[12:13], s[16:17], v[16:17] op_sel_hi:[1,0,1]
	v_pk_fma_f32 v[12:13], v[12:13], s[16:17], v[14:15] op_sel_hi:[1,0,1] neg_lo:[1,0,0] neg_hi:[1,0,0]
	v_pk_fma_f32 v[14:15], v[30:31], s[16:17], v[18:19] op_sel_hi:[1,0,1]
	v_pk_fma_f32 v[8:9], v[30:31], s[16:17], v[8:9] op_sel_hi:[1,0,1] neg_lo:[1,0,0] neg_hi:[1,0,0]
	v_pk_add_f32 v[20:21], v[20:21], v[26:27]
	v_pk_mul_f32 v[10:11], v[10:11], s[2:3] op_sel_hi:[1,0]
	v_mov_b32_e32 v16, v12
	v_mov_b32_e32 v17, v23
	;; [unrolled: 1-line block ×4, first 2 shown]
	v_mul_u32_u24_e32 v0, 25, v33
	v_pk_add_f32 v[20:21], v[20:21], v[24:25]
	v_mov_b32_e32 v23, v13
	v_mov_b32_e32 v15, v9
	v_pk_fma_f32 v[18:19], v[56:57], s[2:3], v[16:17] op_sel_hi:[1,0,1]
	v_pk_add_f32 v[16:17], v[10:11], v[30:31] op_sel:[1,0] op_sel_hi:[0,1]
	v_add_lshl_u32 v63, v0, v47, 3
	v_pk_add_f32 v[20:21], v[20:21], v[28:29]
	v_pk_fma_f32 v[12:13], v[56:57], s[2:3], v[22:23] op_sel_hi:[1,0,1]
	v_pk_add_f32 v[8:9], v[10:11], v[14:15] op_sel:[1,0] op_sel_hi:[0,1]
	ds_write2_b64 v63, v[20:21], v[12:13] offset1:5
	ds_write2_b64 v63, v[8:9], v[16:17] offset0:10 offset1:15
	ds_write_b64 v63, v[18:19] offset:160
	s_waitcnt lgkmcnt(0)
	s_barrier
	ds_read_b64 v[20:21], v32
	ds_read_b64 v[26:27], v32 offset:3000
	ds_read_b64 v[22:23], v32 offset:6000
	s_movk_i32 s2, 0x96
	v_cmp_gt_u16_e32 vcc, s2, v60
                                        ; implicit-def: $vgpr24
                                        ; implicit-def: $vgpr0
	s_and_saveexec_b64 s[2:3], vcc
	s_cbranch_execz .LBB0_3
; %bb.2:
	ds_read_b64 v[24:25], v32 offset:7800
	ds_read_b64 v[16:17], v32 offset:1800
	;; [unrolled: 1-line block ×3, first 2 shown]
	s_waitcnt lgkmcnt(2)
	v_mov_b32_e32 v0, v25
.LBB0_3:
	s_or_b64 exec, exec, s[2:3]
	v_mov_b32_e32 v3, 41
	v_mul_lo_u16_sdwa v3, v60, v3 dst_sel:DWORD dst_unused:UNUSED_PAD src0_sel:BYTE_0 src1_sel:DWORD
	v_lshrrev_b16_e32 v4, 10, v3
	v_mul_lo_u16_e32 v3, 25, v4
	v_sub_u16_e32 v3, v60, v3
	v_and_b32_e32 v7, 0xff, v3
	v_add_u16_e32 v3, 0xe1, v60
	v_mul_u32_u24_e32 v12, 0x47af, v3
	v_sub_u16_sdwa v9, v3, v12 dst_sel:DWORD dst_unused:UNUSED_PAD src0_sel:DWORD src1_sel:WORD_1
	v_lshrrev_b16_e32 v13, 1, v9
	v_add_u16_sdwa v12, v13, v12 dst_sel:DWORD dst_unused:UNUSED_PAD src0_sel:DWORD src1_sel:WORD_1
	v_lshrrev_b16_e32 v61, 4, v12
	v_mul_lo_u16_e32 v12, 25, v61
	v_lshlrev_b32_e32 v8, 4, v7
	v_sub_u16_e32 v62, v3, v12
	global_load_dwordx4 v[8:11], v8, s[10:11] offset:160
	v_lshlrev_b16_e32 v12, 4, v62
	v_mov_b32_e32 v13, 0
	v_lshl_add_u64 v[12:13], s[10:11], 0, v[12:13]
	global_load_dwordx4 v[12:15], v[12:13], off offset:160
	v_mul_u32_u24_e32 v4, 0x4b, v4
	v_add_lshl_u32 v64, v4, v7, 3
	s_mov_b32 s2, 0x3f5db3d7
	s_movk_i32 s14, 0x4b
	s_waitcnt lgkmcnt(0)
	s_barrier
	s_waitcnt vmcnt(1)
	v_pk_mul_f32 v[28:29], v[26:27], v[8:9] op_sel:[0,1]
	v_mov_b32_e32 v4, v11
	v_pk_fma_f32 v[30:31], v[26:27], v[8:9], v[28:29] op_sel:[0,0,1] op_sel_hi:[1,1,0] neg_lo:[0,0,1] neg_hi:[0,0,1]
	v_pk_fma_f32 v[26:27], v[26:27], v[8:9], v[28:29] op_sel:[0,0,1] op_sel_hi:[1,0,0]
	v_pk_mul_f32 v[28:29], v[22:23], v[4:5] op_sel_hi:[1,0]
	v_mov_b32_e32 v31, v27
	v_pk_fma_f32 v[26:27], v[22:23], v[10:11], v[28:29] op_sel:[0,0,1] op_sel_hi:[1,1,0] neg_lo:[0,0,1] neg_hi:[0,0,1]
	v_pk_fma_f32 v[22:23], v[22:23], v[10:11], v[28:29] op_sel:[0,0,1] op_sel_hi:[1,0,0]
	s_waitcnt vmcnt(0)
	v_pk_mul_f32 v[28:29], v[18:19], v[12:13] op_sel:[1,0]
	v_pk_mul_f32 v[54:55], v[0:1], v[14:15] op_sel_hi:[0,1]
	v_mov_b32_e32 v27, v23
	v_pk_add_f32 v[22:23], v[20:21], v[30:31]
	v_pk_fma_f32 v[56:57], v[18:19], v[12:13], v[28:29] op_sel:[0,0,1] op_sel_hi:[0,1,0]
	v_pk_fma_f32 v[18:19], v[18:19], v[12:13], v[28:29] op_sel:[0,0,1] op_sel_hi:[0,1,0] neg_lo:[0,0,1] neg_hi:[0,0,1]
	v_pk_fma_f32 v[28:29], v[24:25], v[14:15], v[54:55] op_sel:[0,0,1] op_sel_hi:[0,1,0]
	v_pk_fma_f32 v[24:25], v[24:25], v[14:15], v[54:55] op_sel:[0,0,1] op_sel_hi:[0,1,0] neg_lo:[0,0,1] neg_hi:[0,0,1]
	v_pk_add_f32 v[22:23], v[22:23], v[26:27]
	v_pk_add_f32 v[54:55], v[30:31], v[26:27]
	v_pk_add_f32 v[26:27], v[30:31], v[26:27] neg_lo:[0,1] neg_hi:[0,1]
	v_mov_b32_e32 v19, v57
	v_mov_b32_e32 v25, v29
	v_pk_fma_f32 v[20:21], v[54:55], 0.5, v[20:21] op_sel_hi:[1,0,1] neg_lo:[1,0,0] neg_hi:[1,0,0]
	v_pk_mul_f32 v[26:27], v[26:27], s[2:3] op_sel_hi:[1,0]
	v_pk_add_f32 v[28:29], v[16:17], v[18:19]
	v_pk_add_f32 v[30:31], v[18:19], v[24:25]
	v_pk_add_f32 v[18:19], v[18:19], v[24:25] neg_lo:[0,1] neg_hi:[0,1]
	v_pk_add_f32 v[54:55], v[20:21], v[26:27] op_sel:[0,1] op_sel_hi:[1,0]
	v_pk_add_f32 v[20:21], v[20:21], v[26:27] op_sel:[0,1] op_sel_hi:[1,0] neg_lo:[0,1] neg_hi:[0,1]
	v_pk_fma_f32 v[16:17], v[30:31], 0.5, v[16:17] op_sel_hi:[1,0,1] neg_lo:[1,0,0] neg_hi:[1,0,0]
	v_pk_mul_f32 v[18:19], v[18:19], s[2:3] op_sel_hi:[1,0]
	v_pk_add_f32 v[24:25], v[28:29], v[24:25]
	v_mov_b32_e32 v30, v54
	v_mov_b32_e32 v31, v21
	v_pk_add_f32 v[26:27], v[16:17], v[18:19] op_sel:[0,1] op_sel_hi:[1,0] neg_lo:[0,1] neg_hi:[0,1]
	v_pk_add_f32 v[28:29], v[18:19], v[16:17] op_sel:[1,0] op_sel_hi:[0,1]
	v_mov_b32_e32 v21, v55
	ds_write2_b64 v64, v[22:23], v[30:31] offset1:25
	ds_write_b64 v64, v[20:21] offset:400
	s_and_saveexec_b64 s[2:3], vcc
	s_cbranch_execz .LBB0_5
; %bb.4:
	v_mad_legacy_u16 v0, v61, s14, v62
	v_lshlrev_b32_e32 v0, 3, v0
	v_mov_b32_e32 v16, v28
	v_mov_b32_e32 v17, v27
	ds_write2_b64 v0, v[24:25], v[16:17] offset1:25
	v_mov_b32_e32 v16, v26
	v_mov_b32_e32 v17, v29
	ds_write_b64 v0, v[16:17] offset:400
.LBB0_5:
	s_or_b64 exec, exec, s[2:3]
	s_waitcnt lgkmcnt(0)
	s_barrier
	ds_read_b64 v[30:31], v32
	ds_read_b64 v[56:57], v32 offset:3000
	ds_read_b64 v[54:55], v32 offset:6000
	s_and_saveexec_b64 s[2:3], s[0:1]
	s_xor_b64 s[2:3], exec, s[2:3]
	s_andn2_saveexec_b64 s[2:3], s[2:3]
	s_cbranch_execz .LBB0_7
; %bb.6:
	ds_read_b64 v[16:17], v32 offset:4800
	ds_read_b64 v[26:27], v32 offset:7800
	;; [unrolled: 1-line block ×3, first 2 shown]
	s_waitcnt lgkmcnt(2)
	v_mov_b32_e32 v28, v16
	s_waitcnt lgkmcnt(1)
	v_mov_b32_e32 v29, v27
	v_mov_b32_e32 v27, v17
.LBB0_7:
	s_or_b64 exec, exec, s[2:3]
	v_mul_u32_u24_e32 v4, 0xb4e9, v3
	s_movk_i32 s2, 0xdb
	v_sub_u16_sdwa v7, v3, v4 dst_sel:DWORD dst_unused:UNUSED_PAD src0_sel:DWORD src1_sel:WORD_1
	v_mul_lo_u16_sdwa v0, v60, s2 dst_sel:DWORD dst_unused:UNUSED_PAD src0_sel:BYTE_0 src1_sel:DWORD
	v_lshrrev_b16_e32 v7, 1, v7
	v_lshrrev_b16_e32 v33, 14, v0
	v_add_u16_sdwa v4, v7, v4 dst_sel:DWORD dst_unused:UNUSED_PAD src0_sel:DWORD src1_sel:WORD_1
	v_mul_lo_u16_e32 v0, 0x4b, v33
	v_lshrrev_b16_e32 v65, 6, v4
	v_sub_u16_e32 v0, v60, v0
	v_mul_lo_u16_e32 v4, 0x4b, v65
	v_and_b32_e32 v67, 0xff, v0
	v_sub_u16_e32 v66, v3, v4
	v_lshlrev_b32_e32 v0, 4, v67
	v_lshlrev_b16_e32 v58, 4, v66
	v_mov_b32_e32 v59, 0
	global_load_dwordx4 v[20:23], v0, s[10:11] offset:560
	v_lshl_add_u64 v[16:17], s[10:11], 0, v[58:59]
	global_load_dwordx4 v[16:19], v[16:17], off offset:560
	s_mov_b32 s2, 0x3f5db3d7
	v_mul_u32_u24_e32 v33, 0xe1, v33
	v_mov_b32_e32 v51, v50
	v_mov_b32_e32 v4, v5
	;; [unrolled: 1-line block ×8, first 2 shown]
	s_movk_i32 s14, 0xe1
	v_add_lshl_u32 v58, v33, v67, 3
	s_waitcnt lgkmcnt(0)
	s_barrier
	s_waitcnt vmcnt(1)
	v_pk_mul_f32 v[68:69], v[56:57], v[20:21] op_sel:[0,1]
	v_mov_b32_e32 v70, v23
	v_pk_fma_f32 v[72:73], v[56:57], v[20:21], v[68:69] op_sel:[0,0,1] op_sel_hi:[1,1,0] neg_lo:[0,0,1] neg_hi:[0,0,1]
	v_pk_fma_f32 v[56:57], v[56:57], v[20:21], v[68:69] op_sel:[0,0,1] op_sel_hi:[1,0,0]
	v_pk_mul_f32 v[68:69], v[54:55], v[70:71] op_sel_hi:[1,0]
	s_waitcnt vmcnt(0)
	v_pk_mul_f32 v[70:71], v[26:27], v[16:17] op_sel:[1,0]
	v_pk_mul_f32 v[74:75], v[28:29], v[18:19] op_sel:[1,0]
	v_mov_b32_e32 v73, v57
	v_pk_fma_f32 v[56:57], v[54:55], v[22:23], v[68:69] op_sel:[0,0,1] op_sel_hi:[1,1,0] neg_lo:[0,0,1] neg_hi:[0,0,1]
	v_pk_fma_f32 v[54:55], v[54:55], v[22:23], v[68:69] op_sel:[0,0,1] op_sel_hi:[1,0,0]
	v_pk_fma_f32 v[68:69], v[28:29], v[16:17], v[70:71] op_sel:[0,0,1] op_sel_hi:[0,1,0]
	v_pk_fma_f32 v[28:29], v[28:29], v[16:17], v[70:71] op_sel:[0,0,1] op_sel_hi:[0,1,0] neg_lo:[0,0,1] neg_hi:[0,0,1]
	v_pk_fma_f32 v[70:71], v[26:27], v[18:19], v[74:75] op_sel:[0,0,1] op_sel_hi:[0,1,0]
	v_pk_fma_f32 v[26:27], v[26:27], v[18:19], v[74:75] op_sel:[0,0,1] op_sel_hi:[0,1,0] neg_lo:[0,0,1] neg_hi:[0,0,1]
	v_mov_b32_e32 v57, v55
	v_pk_add_f32 v[54:55], v[30:31], v[72:73]
	v_mov_b32_e32 v29, v69
	v_mov_b32_e32 v27, v71
	v_pk_add_f32 v[68:69], v[54:55], v[56:57]
	v_pk_add_f32 v[54:55], v[72:73], v[56:57]
	v_pk_add_f32 v[56:57], v[72:73], v[56:57] neg_lo:[0,1] neg_hi:[0,1]
	v_pk_add_f32 v[70:71], v[28:29], v[26:27]
	v_pk_add_f32 v[72:73], v[28:29], v[26:27] neg_lo:[0,1] neg_hi:[0,1]
	v_pk_fma_f32 v[30:31], v[54:55], 0.5, v[30:31] op_sel_hi:[1,0,1] neg_lo:[1,0,0] neg_hi:[1,0,0]
	v_pk_mul_f32 v[54:55], v[56:57], s[2:3] op_sel_hi:[1,0]
	v_pk_fma_f32 v[56:57], v[70:71], 0.5, v[24:25] op_sel_hi:[1,0,1] neg_lo:[1,0,0] neg_hi:[1,0,0]
	v_pk_mul_f32 v[70:71], v[72:73], s[2:3] op_sel_hi:[1,0]
	v_pk_add_f32 v[72:73], v[30:31], v[54:55] op_sel:[0,1] op_sel_hi:[1,0]
	v_pk_add_f32 v[74:75], v[30:31], v[54:55] op_sel:[0,1] op_sel_hi:[1,0] neg_lo:[0,1] neg_hi:[0,1]
	v_pk_add_f32 v[30:31], v[56:57], v[70:71] op_sel:[0,1] op_sel_hi:[1,0]
	v_pk_add_f32 v[56:57], v[56:57], v[70:71] op_sel:[0,1] op_sel_hi:[1,0] neg_lo:[0,1] neg_hi:[0,1]
	v_mov_b32_e32 v70, v72
	v_mov_b32_e32 v71, v75
	;; [unrolled: 1-line block ×5, first 2 shown]
	ds_write2_b64 v58, v[68:69], v[70:71] offset1:75
	ds_write_b64 v58, v[74:75] offset:1200
	s_and_saveexec_b64 s[2:3], vcc
	s_cbranch_execz .LBB0_9
; %bb.8:
	v_mad_legacy_u16 v31, v65, s14, v66
	v_pk_add_f32 v[24:25], v[24:25], v[28:29]
	v_lshlrev_b32_e32 v33, 3, v31
	v_pk_add_f32 v[24:25], v[24:25], v[26:27]
	v_mov_b32_e32 v31, v57
	ds_write2_b64 v33, v[24:25], v[30:31] offset1:75
	ds_write_b64 v33, v[54:55] offset:1200
.LBB0_9:
	s_or_b64 exec, exec, s[2:3]
	v_lshlrev_b32_e32 v33, 5, v60
	s_waitcnt lgkmcnt(0)
	s_barrier
	global_load_dwordx4 v[28:31], v33, s[10:11] offset:1760
	global_load_dwordx4 v[24:27], v33, s[10:11] offset:1776
	v_mov_b32_e32 v33, v59
	v_add_u32_e32 v59, 0xe00, v32
	ds_read2_b64 v[68:71], v32 offset1:225
	ds_read2_b64 v[72:75], v59 offset0:2 offset1:227
	ds_read_b64 v[56:57], v32 offset:7200
	s_mov_b32 s14, 0x3f737871
	s_mov_b32 s10, 0x3e9e377a
	s_movk_i32 s2, 0x2000
	v_lshl_add_u64 v[76:77], s[8:9], 0, v[32:33]
	s_mov_b64 s[18:19], 0x2328
	v_add_co_u32_e64 v78, s[2:3], s2, v76
	s_waitcnt vmcnt(1) lgkmcnt(2)
	v_pk_mul_f32 v[80:81], v[70:71], v[28:29] op_sel:[0,1]
	v_mov_b32_e32 v82, v31
	s_waitcnt vmcnt(0) lgkmcnt(1)
	v_pk_mul_f32 v[84:85], v[74:75], v[24:25] op_sel:[0,1]
	v_mov_b32_e32 v86, v27
	v_pk_fma_f32 v[88:89], v[70:71], v[28:29], v[80:81] op_sel:[0,0,1] op_sel_hi:[1,1,0] neg_lo:[0,0,1] neg_hi:[0,0,1]
	v_pk_fma_f32 v[70:71], v[70:71], v[28:29], v[80:81] op_sel:[0,0,1] op_sel_hi:[1,0,0]
	v_pk_mul_f32 v[80:81], v[72:73], v[82:83] op_sel_hi:[1,0]
	v_pk_fma_f32 v[82:83], v[74:75], v[24:25], v[84:85] op_sel:[0,0,1] op_sel_hi:[1,1,0] neg_lo:[0,0,1] neg_hi:[0,0,1]
	v_pk_fma_f32 v[74:75], v[74:75], v[24:25], v[84:85] op_sel:[0,0,1] op_sel_hi:[1,0,0]
	s_waitcnt lgkmcnt(0)
	v_pk_mul_f32 v[84:85], v[56:57], v[86:87] op_sel_hi:[1,0]
	v_mov_b32_e32 v89, v71
	v_pk_fma_f32 v[70:71], v[72:73], v[30:31], v[80:81] op_sel:[0,0,1] op_sel_hi:[1,1,0] neg_lo:[0,0,1] neg_hi:[0,0,1]
	v_pk_fma_f32 v[72:73], v[72:73], v[30:31], v[80:81] op_sel:[0,0,1] op_sel_hi:[1,0,0]
	v_mov_b32_e32 v83, v75
	v_pk_fma_f32 v[74:75], v[56:57], v[26:27], v[84:85] op_sel:[0,0,1] op_sel_hi:[1,1,0] neg_lo:[0,0,1] neg_hi:[0,0,1]
	v_pk_fma_f32 v[56:57], v[56:57], v[26:27], v[84:85] op_sel:[0,0,1] op_sel_hi:[1,0,0]
	v_mov_b32_e32 v71, v73
	v_mov_b32_e32 v75, v57
	v_pk_add_f32 v[56:57], v[68:69], v[88:89]
	v_pk_add_f32 v[72:73], v[70:71], v[82:83]
	;; [unrolled: 1-line block ×3, first 2 shown]
	v_pk_add_f32 v[80:81], v[88:89], v[74:75] neg_lo:[0,1] neg_hi:[0,1]
	v_pk_add_f32 v[84:85], v[70:71], v[82:83] neg_lo:[0,1] neg_hi:[0,1]
	v_pk_add_f32 v[92:93], v[88:89], v[74:75]
	v_pk_add_f32 v[86:87], v[88:89], v[70:71] neg_lo:[0,1] neg_hi:[0,1]
	v_pk_add_f32 v[90:91], v[74:75], v[82:83] neg_lo:[0,1] neg_hi:[0,1]
	;; [unrolled: 1-line block ×4, first 2 shown]
	v_pk_add_f32 v[56:57], v[56:57], v[82:83]
	v_pk_fma_f32 v[72:73], v[72:73], 0.5, v[68:69] op_sel_hi:[1,0,1] neg_lo:[1,0,0] neg_hi:[1,0,0]
	v_pk_mul_f32 v[82:83], v[80:81], s[14:15] op_sel_hi:[1,0]
	v_pk_mul_f32 v[94:95], v[84:85], s[16:17] op_sel_hi:[1,0]
	v_pk_fma_f32 v[68:69], v[92:93], 0.5, v[68:69] op_sel_hi:[1,0,1] neg_lo:[1,0,0] neg_hi:[1,0,0]
	v_pk_mul_f32 v[84:85], v[84:85], s[14:15] op_sel_hi:[1,0]
	v_pk_mul_f32 v[80:81], v[80:81], s[16:17] op_sel_hi:[1,0]
	v_pk_add_f32 v[56:57], v[56:57], v[74:75]
	v_pk_add_f32 v[74:75], v[72:73], v[82:83] op_sel:[0,1] op_sel_hi:[1,0]
	v_pk_add_f32 v[72:73], v[72:73], v[82:83] op_sel:[0,1] op_sel_hi:[1,0] neg_lo:[0,1] neg_hi:[0,1]
	v_pk_add_f32 v[82:83], v[68:69], v[84:85] op_sel:[0,1] op_sel_hi:[1,0] neg_lo:[0,1] neg_hi:[0,1]
	v_pk_add_f32 v[68:69], v[68:69], v[84:85] op_sel:[0,1] op_sel_hi:[1,0]
	v_pk_add_f32 v[72:73], v[72:73], v[94:95] op_sel:[0,1] op_sel_hi:[1,0] neg_lo:[0,1] neg_hi:[0,1]
	v_pk_add_f32 v[74:75], v[74:75], v[94:95] op_sel:[0,1] op_sel_hi:[1,0]
	;; [unrolled: 2-line block ×3, first 2 shown]
	v_pk_add_f32 v[86:87], v[86:87], v[90:91]
	v_pk_add_f32 v[70:71], v[70:71], v[88:89]
	v_mov_b32_e32 v82, v74
	v_mov_b32_e32 v83, v73
	;; [unrolled: 1-line block ×6, first 2 shown]
	v_pk_fma_f32 v[74:75], v[86:87], s[10:11], v[82:83] op_sel_hi:[1,0,1]
	v_pk_fma_f32 v[68:69], v[70:71], s[10:11], v[68:69] op_sel_hi:[1,0,1]
	v_addc_co_u32_e64 v79, s[2:3], 0, v77, s[2:3]
	v_pk_fma_f32 v[80:81], v[70:71], s[10:11], v[84:85] op_sel_hi:[1,0,1]
	v_pk_fma_f32 v[70:71], v[86:87], s[10:11], v[72:73] op_sel_hi:[1,0,1]
	ds_write2_b64 v32, v[56:57], v[74:75] offset1:225
	ds_write2_b64 v59, v[80:81], v[68:69] offset0:2 offset1:227
	ds_write_b64 v32, v[70:71] offset:7200
	v_lshl_add_u64 v[68:69], v[76:77], 0, s[18:19]
	s_waitcnt lgkmcnt(0)
	s_barrier
	global_load_dwordx2 v[56:57], v[78:79], off offset:808
	global_load_dwordx2 v[74:75], v[68:69], off offset:3600
	;; [unrolled: 1-line block ×3, first 2 shown]
	s_movk_i32 s2, 0x3000
	v_add_co_u32_e64 v70, s[2:3], s2, v76
	s_nop 1
	v_addc_co_u32_e64 v71, s[2:3], 0, v77, s[2:3]
	global_load_dwordx2 v[76:77], v[70:71], off offset:2112
	global_load_dwordx2 v[78:79], v[70:71], off offset:3912
	ds_read2_b64 v[68:71], v32 offset1:225
	s_waitcnt vmcnt(4) lgkmcnt(0)
	v_mul_f32_e32 v33, v69, v57
	v_mul_f32_e32 v81, v68, v57
	s_waitcnt vmcnt(2)
	v_mul_f32_e32 v67, v71, v73
	v_mul_f32_e32 v57, v70, v73
	v_fma_f32 v80, v68, v56, -v33
	v_fmac_f32_e32 v81, v69, v56
	v_fma_f32 v56, v70, v72, -v67
	v_fmac_f32_e32 v57, v71, v72
	ds_write2_b64 v32, v[80:81], v[56:57] offset1:225
	ds_read2_b64 v[68:71], v59 offset0:2 offset1:227
	ds_read_b64 v[56:57], v32 offset:7200
	s_waitcnt lgkmcnt(1)
	v_mul_f32_e32 v33, v69, v75
	v_mul_f32_e32 v73, v68, v75
	s_waitcnt vmcnt(1)
	v_mul_f32_e32 v67, v71, v77
	v_mul_f32_e32 v75, v70, v77
	s_waitcnt vmcnt(0) lgkmcnt(0)
	v_mul_f32_e32 v80, v57, v79
	v_mul_f32_e32 v77, v56, v79
	v_fma_f32 v72, v68, v74, -v33
	v_fmac_f32_e32 v73, v69, v74
	v_fma_f32 v74, v70, v76, -v67
	v_fmac_f32_e32 v75, v71, v76
	v_fma_f32 v76, v56, v78, -v80
	v_fmac_f32_e32 v77, v57, v78
	ds_write2_b64 v59, v[72:73], v[74:75] offset0:2 offset1:227
	ds_write_b64 v32, v[76:77] offset:7200
	s_waitcnt lgkmcnt(0)
	s_barrier
	ds_read2_b64 v[68:71], v32 offset1:225
	ds_read2_b64 v[72:75], v59 offset0:2 offset1:227
	ds_read_b64 v[56:57], v32 offset:7200
	s_waitcnt lgkmcnt(0)
	s_barrier
	v_pk_add_f32 v[76:77], v[68:69], v[70:71]
	v_pk_add_f32 v[78:79], v[72:73], v[74:75]
	v_pk_add_f32 v[80:81], v[70:71], v[56:57] neg_lo:[0,1] neg_hi:[0,1]
	v_pk_add_f32 v[82:83], v[72:73], v[74:75] neg_lo:[0,1] neg_hi:[0,1]
	v_pk_add_f32 v[88:89], v[70:71], v[56:57]
	v_pk_add_f32 v[84:85], v[70:71], v[72:73] neg_lo:[0,1] neg_hi:[0,1]
	v_pk_add_f32 v[70:71], v[72:73], v[70:71] neg_lo:[0,1] neg_hi:[0,1]
	v_pk_add_f32 v[72:73], v[76:77], v[72:73]
	v_pk_fma_f32 v[76:77], v[78:79], 0.5, v[68:69] op_sel_hi:[1,0,1] neg_lo:[1,0,0] neg_hi:[1,0,0]
	v_pk_mul_f32 v[78:79], v[80:81], s[14:15] op_sel_hi:[1,0]
	v_pk_mul_f32 v[92:93], v[82:83], s[16:17] op_sel_hi:[1,0]
	v_pk_fma_f32 v[68:69], v[88:89], 0.5, v[68:69] op_sel_hi:[1,0,1] neg_lo:[1,0,0] neg_hi:[1,0,0]
	v_pk_mul_f32 v[82:83], v[82:83], s[14:15] op_sel_hi:[1,0]
	v_pk_add_f32 v[86:87], v[56:57], v[74:75] neg_lo:[0,1] neg_hi:[0,1]
	v_pk_add_f32 v[90:91], v[74:75], v[56:57] neg_lo:[0,1] neg_hi:[0,1]
	v_pk_mul_f32 v[80:81], v[80:81], s[16:17] op_sel_hi:[1,0]
	v_pk_add_f32 v[72:73], v[72:73], v[74:75]
	v_pk_add_f32 v[74:75], v[76:77], v[78:79] op_sel:[0,1] op_sel_hi:[1,0] neg_lo:[0,1] neg_hi:[0,1]
	v_pk_add_f32 v[76:77], v[76:77], v[78:79] op_sel:[0,1] op_sel_hi:[1,0]
	v_pk_add_f32 v[78:79], v[68:69], v[82:83] op_sel:[0,1] op_sel_hi:[1,0]
	v_pk_add_f32 v[68:69], v[68:69], v[82:83] op_sel:[0,1] op_sel_hi:[1,0] neg_lo:[0,1] neg_hi:[0,1]
	v_pk_add_f32 v[56:57], v[72:73], v[56:57]
	v_pk_add_f32 v[72:73], v[76:77], v[92:93] op_sel:[0,1] op_sel_hi:[1,0]
	v_pk_add_f32 v[74:75], v[74:75], v[92:93] op_sel:[0,1] op_sel_hi:[1,0] neg_lo:[0,1] neg_hi:[0,1]
	v_pk_add_f32 v[68:69], v[68:69], v[80:81] op_sel:[0,1] op_sel_hi:[1,0]
	v_pk_add_f32 v[76:77], v[78:79], v[80:81] op_sel:[0,1] op_sel_hi:[1,0] neg_lo:[0,1] neg_hi:[0,1]
	v_pk_add_f32 v[84:85], v[84:85], v[86:87]
	v_pk_add_f32 v[70:71], v[70:71], v[90:91]
	v_mov_b32_e32 v78, v74
	v_mov_b32_e32 v79, v73
	;; [unrolled: 1-line block ×6, first 2 shown]
	v_pk_fma_f32 v[74:75], v[84:85], s[10:11], v[78:79] op_sel_hi:[1,0,1]
	v_pk_fma_f32 v[76:77], v[70:71], s[10:11], v[80:81] op_sel_hi:[1,0,1]
	;; [unrolled: 1-line block ×4, first 2 shown]
	ds_write2_b64 v35, v[56:57], v[74:75] offset1:1
	ds_write2_b64 v35, v[76:77], v[68:69] offset0:2 offset1:3
	ds_write_b64 v35, v[70:71] offset:32
	s_waitcnt lgkmcnt(0)
	s_barrier
	ds_read2_b64 v[68:71], v32 offset1:225
	ds_read2_b64 v[72:75], v59 offset0:2 offset1:227
	ds_read_b64 v[76:77], v32 offset:7200
	s_waitcnt lgkmcnt(0)
	s_barrier
	v_pk_mul_f32 v[4:5], v[4:5], v[70:71]
	v_pk_mul_f32 v[52:53], v[52:53], v[72:73]
	;; [unrolled: 1-line block ×4, first 2 shown]
	v_pk_fma_f32 v[78:79], v[50:51], v[70:71], v[4:5] op_sel:[0,0,1] op_sel_hi:[1,1,0]
	v_pk_fma_f32 v[4:5], v[50:51], v[70:71], v[4:5] op_sel:[0,0,1] op_sel_hi:[1,1,0] neg_lo:[0,0,1] neg_hi:[0,0,1]
	v_pk_fma_f32 v[50:51], v[6:7], v[72:73], v[52:53] op_sel:[0,0,1] op_sel_hi:[1,1,0]
	v_pk_fma_f32 v[6:7], v[6:7], v[72:73], v[52:53] op_sel:[0,0,1] op_sel_hi:[1,1,0] neg_lo:[0,0,1] neg_hi:[0,0,1]
	;; [unrolled: 2-line block ×4, first 2 shown]
	v_mov_b32_e32 v79, v5
	v_mov_b32_e32 v51, v7
	;; [unrolled: 1-line block ×6, first 2 shown]
	v_pk_add_f32 v[48:49], v[50:51], v[52:53]
	v_pk_add_f32 v[70:71], v[78:79], v[50:51] neg_lo:[0,1] neg_hi:[0,1]
	v_pk_add_f32 v[72:73], v[46:47], v[52:53] neg_lo:[0,1] neg_hi:[0,1]
	v_mov_b32_e32 v2, v3
	v_mov_b32_e32 v3, v46
	;; [unrolled: 1-line block ×6, first 2 shown]
	v_pk_add_f32 v[74:75], v[78:79], v[46:47]
	v_pk_add_f32 v[70:71], v[70:71], v[72:73]
	v_pk_add_f32 v[72:73], v[4:5], v[2:3] neg_lo:[0,1] neg_hi:[0,1]
	v_pk_fma_f32 v[48:49], v[48:49], 0.5, v[68:69] op_sel_hi:[1,0,1] neg_lo:[1,0,0] neg_hi:[1,0,0]
	v_pk_add_f32 v[76:77], v[6:7], v[0:1] neg_lo:[0,1] neg_hi:[0,1]
	v_pk_add_f32 v[4:5], v[6:7], v[4:5] neg_lo:[0,1] neg_hi:[0,1]
	;; [unrolled: 1-line block ×3, first 2 shown]
	v_pk_fma_f32 v[74:75], v[74:75], 0.5, v[68:69] op_sel_hi:[1,0,1] neg_lo:[1,0,0] neg_hi:[1,0,0]
	v_pk_add_f32 v[0:1], v[4:5], v[0:1]
	v_pk_fma_f32 v[2:3], v[72:73], s[14:15], v[48:49] op_sel_hi:[1,0,1] neg_lo:[1,0,0] neg_hi:[1,0,0]
	v_pk_mul_f32 v[4:5], v[0:1], s[10:11] op_sel_hi:[1,0]
	v_pk_fma_f32 v[0:1], v[72:73], s[14:15], v[48:49] op_sel_hi:[1,0,1]
	v_pk_fma_f32 v[6:7], v[76:77], s[16:17], v[2:3] op_sel_hi:[1,0,1] neg_lo:[1,0,0] neg_hi:[1,0,0]
	v_pk_fma_f32 v[2:3], v[76:77], s[14:15], v[74:75] op_sel_hi:[1,0,1] neg_lo:[1,0,0] neg_hi:[1,0,0]
	v_pk_fma_f32 v[74:75], v[76:77], s[14:15], v[74:75] op_sel_hi:[1,0,1]
	v_pk_add_f32 v[68:69], v[68:69], v[78:79]
	v_pk_fma_f32 v[48:49], v[76:77], s[16:17], v[0:1] op_sel_hi:[1,0,1]
	v_pk_fma_f32 v[74:75], v[72:73], s[16:17], v[74:75] op_sel_hi:[1,0,1] neg_lo:[1,0,0] neg_hi:[1,0,0]
	v_pk_fma_f32 v[72:73], v[72:73], s[16:17], v[2:3] op_sel_hi:[1,0,1]
	v_pk_add_f32 v[50:51], v[68:69], v[50:51]
	v_mov_b32_e32 v1, v7
	v_mov_b32_e32 v2, v72
	;; [unrolled: 1-line block ×3, first 2 shown]
	v_pk_add_f32 v[50:51], v[50:51], v[52:53]
	v_mov_b32_e32 v7, v49
	v_mov_b32_e32 v75, v73
	;; [unrolled: 1-line block ×3, first 2 shown]
	v_pk_add_f32 v[2:3], v[4:5], v[2:3] op_sel:[1,0] op_sel_hi:[0,1]
	v_pk_add_f32 v[46:47], v[50:51], v[46:47]
	v_pk_fma_f32 v[6:7], v[70:71], s[10:11], v[6:7] op_sel_hi:[1,0,1]
	v_pk_add_f32 v[4:5], v[4:5], v[74:75] op_sel:[1,0] op_sel_hi:[0,1]
	v_pk_fma_f32 v[0:1], v[70:71], s[10:11], v[0:1] op_sel_hi:[1,0,1]
	ds_write2_b64 v63, v[46:47], v[6:7] offset1:5
	ds_write2_b64 v63, v[4:5], v[2:3] offset0:10 offset1:15
	ds_write_b64 v63, v[0:1] offset:160
	s_waitcnt lgkmcnt(0)
	s_barrier
	ds_read_b64 v[6:7], v32
	ds_read_b64 v[50:51], v32 offset:3000
	ds_read_b64 v[46:47], v32 offset:6000
	v_mov_b32_e32 v56, v8
	v_mov_b32_e32 v57, v8
	v_mov_b32_e32 v8, v9
	v_mov_b32_e32 v48, v10
	v_mov_b32_e32 v49, v10
	v_mov_b32_e32 v10, v11
	s_and_saveexec_b64 s[2:3], vcc
	s_cbranch_execz .LBB0_11
; %bb.10:
	ds_read_b64 v[2:3], v32 offset:1800
	ds_read_b64 v[0:1], v32 offset:4800
	ds_read_b64 v[54:55], v32 offset:7800
.LBB0_11:
	s_or_b64 exec, exec, s[2:3]
	s_waitcnt lgkmcnt(1)
	v_pk_mul_f32 v[4:5], v[12:13], v[0:1] op_sel:[0,1]
	s_waitcnt lgkmcnt(0)
	v_mov_b32_e32 v52, v55
	v_pk_mul_f32 v[52:53], v[14:15], v[52:53] op_sel_hi:[1,0]
	v_pk_fma_f32 v[68:69], v[12:13], v[0:1], v[4:5] op_sel:[0,0,1] op_sel_hi:[1,1,0]
	v_pk_fma_f32 v[0:1], v[12:13], v[0:1], v[4:5] op_sel:[0,0,1] op_sel_hi:[1,0,0] neg_lo:[1,0,0] neg_hi:[1,0,0]
	v_pk_fma_f32 v[4:5], v[14:15], v[54:55], v[52:53] op_sel:[0,0,1] op_sel_hi:[1,1,0]
	v_mov_b32_e32 v69, v1
	v_pk_fma_f32 v[0:1], v[14:15], v[54:55], v[52:53] op_sel:[0,0,1] op_sel_hi:[1,0,0] neg_lo:[1,0,0] neg_hi:[1,0,0]
	s_mov_b32 s2, 0x3f5db3d7
	v_mov_b32_e32 v5, v1
	v_pk_add_f32 v[12:13], v[68:69], v[4:5]
	v_pk_add_f32 v[0:1], v[2:3], v[68:69]
	v_pk_fma_f32 v[12:13], v[12:13], 0.5, v[2:3] op_sel_hi:[1,0,1] neg_lo:[1,0,0] neg_hi:[1,0,0]
	v_pk_add_f32 v[2:3], v[68:69], v[4:5] neg_lo:[0,1] neg_hi:[0,1]
	v_pk_mul_f32 v[8:9], v[8:9], v[50:51]
	v_pk_add_f32 v[0:1], v[0:1], v[4:5]
	v_pk_mul_f32 v[4:5], v[2:3], s[2:3] op_sel_hi:[1,0]
	v_pk_mul_f32 v[10:11], v[10:11], v[46:47]
	v_pk_add_f32 v[2:3], v[4:5], v[12:13] op_sel:[1,0] op_sel_hi:[0,1]
	v_pk_add_f32 v[4:5], v[12:13], v[4:5] op_sel:[0,1] op_sel_hi:[1,0] neg_lo:[0,1] neg_hi:[0,1]
	v_pk_fma_f32 v[12:13], v[56:57], v[50:51], v[8:9] op_sel:[0,0,1] op_sel_hi:[1,1,0]
	v_pk_fma_f32 v[8:9], v[56:57], v[50:51], v[8:9] op_sel:[0,0,1] op_sel_hi:[1,1,0] neg_lo:[0,0,1] neg_hi:[0,0,1]
	s_nop 0
	v_mov_b32_e32 v13, v9
	v_pk_fma_f32 v[8:9], v[48:49], v[46:47], v[10:11] op_sel:[0,0,1] op_sel_hi:[1,1,0]
	v_pk_fma_f32 v[10:11], v[48:49], v[46:47], v[10:11] op_sel:[0,0,1] op_sel_hi:[1,1,0] neg_lo:[0,0,1] neg_hi:[0,0,1]
	s_barrier
	v_mov_b32_e32 v9, v11
	v_pk_add_f32 v[10:11], v[6:7], v[12:13]
	v_pk_add_f32 v[14:15], v[12:13], v[8:9]
	;; [unrolled: 1-line block ×3, first 2 shown]
	v_pk_add_f32 v[8:9], v[12:13], v[8:9] neg_lo:[0,1] neg_hi:[0,1]
	v_pk_fma_f32 v[6:7], v[14:15], 0.5, v[6:7] op_sel_hi:[1,0,1] neg_lo:[1,0,0] neg_hi:[1,0,0]
	v_pk_mul_f32 v[8:9], v[8:9], s[2:3] op_sel_hi:[1,0]
	s_nop 0
	v_pk_add_f32 v[12:13], v[6:7], v[8:9] op_sel:[0,1] op_sel_hi:[1,0] neg_lo:[0,1] neg_hi:[0,1]
	v_pk_add_f32 v[6:7], v[6:7], v[8:9] op_sel:[0,1] op_sel_hi:[1,0]
	v_mov_b32_e32 v8, v12
	v_mov_b32_e32 v9, v7
	v_mov_b32_e32 v7, v13
	ds_write2_b64 v64, v[10:11], v[8:9] offset1:25
	ds_write_b64 v64, v[6:7] offset:400
	s_and_saveexec_b64 s[2:3], vcc
	s_cbranch_execz .LBB0_13
; %bb.12:
	s_movk_i32 s8, 0x4b
	v_mad_legacy_u16 v6, v61, s8, v62
	v_lshlrev_b32_e32 v8, 3, v6
	v_mov_b32_e32 v6, v4
	v_mov_b32_e32 v7, v3
	ds_write2_b64 v8, v[0:1], v[6:7] offset1:25
	v_mov_b32_e32 v6, v2
	v_mov_b32_e32 v7, v5
	ds_write_b64 v8, v[6:7] offset:400
.LBB0_13:
	s_or_b64 exec, exec, s[2:3]
	s_waitcnt lgkmcnt(0)
	s_barrier
	ds_read_b64 v[14:15], v32
	ds_read_b64 v[48:49], v32 offset:3000
	ds_read_b64 v[46:47], v32 offset:6000
	s_and_saveexec_b64 s[2:3], s[0:1]
	s_xor_b64 s[0:1], exec, s[2:3]
	s_or_saveexec_b64 s[0:1], s[0:1]
	v_mov_b32_e32 v52, v20
	v_mov_b32_e32 v53, v20
	;; [unrolled: 1-line block ×6, first 2 shown]
	s_xor_b64 exec, exec, s[0:1]
	s_cbranch_execz .LBB0_15
; %bb.14:
	ds_read_b64 v[6:7], v32 offset:7800
	ds_read_b64 v[4:5], v32 offset:4800
	;; [unrolled: 1-line block ×3, first 2 shown]
	s_waitcnt lgkmcnt(2)
	v_mov_b32_e32 v2, v6
	s_waitcnt lgkmcnt(1)
	v_mov_b32_e32 v3, v5
	v_mov_b32_e32 v5, v7
.LBB0_15:
	s_or_b64 exec, exec, s[0:1]
	s_waitcnt lgkmcnt(1)
	v_pk_mul_f32 v[20:21], v[20:21], v[48:49]
	s_waitcnt lgkmcnt(0)
	v_pk_mul_f32 v[22:23], v[22:23], v[46:47]
	v_pk_fma_f32 v[54:55], v[52:53], v[48:49], v[20:21] op_sel:[0,0,1] op_sel_hi:[1,1,0]
	v_pk_fma_f32 v[20:21], v[52:53], v[48:49], v[20:21] op_sel:[0,0,1] op_sel_hi:[1,1,0] neg_lo:[0,0,1] neg_hi:[0,0,1]
	s_mov_b32 s2, 0x3f5db3d7
	v_mov_b32_e32 v55, v21
	v_pk_fma_f32 v[20:21], v[50:51], v[46:47], v[22:23] op_sel:[0,0,1] op_sel_hi:[1,1,0]
	v_pk_fma_f32 v[22:23], v[50:51], v[46:47], v[22:23] op_sel:[0,0,1] op_sel_hi:[1,1,0] neg_lo:[0,0,1] neg_hi:[0,0,1]
	v_mov_b32_e32 v12, v28
	v_mov_b32_e32 v21, v23
	v_pk_add_f32 v[22:23], v[14:15], v[54:55]
	v_pk_add_f32 v[46:47], v[54:55], v[20:21]
	;; [unrolled: 1-line block ×3, first 2 shown]
	v_pk_add_f32 v[20:21], v[54:55], v[20:21] neg_lo:[0,1] neg_hi:[0,1]
	v_pk_fma_f32 v[14:15], -0.5, v[46:47], v[14:15] op_sel_hi:[0,1,1]
	v_pk_mul_f32 v[20:21], v[20:21], s[2:3] op_sel_hi:[1,0]
	v_mov_b32_e32 v13, v28
	v_pk_add_f32 v[46:47], v[14:15], v[20:21] op_sel:[0,1] op_sel_hi:[1,0] neg_lo:[0,1] neg_hi:[0,1]
	v_pk_add_f32 v[14:15], v[14:15], v[20:21] op_sel:[0,1] op_sel_hi:[1,0]
	v_mov_b32_e32 v28, v29
	v_mov_b32_e32 v10, v30
	;; [unrolled: 1-line block ×13, first 2 shown]
	s_barrier
	ds_write2_b64 v58, v[22:23], v[20:21] offset1:75
	ds_write_b64 v58, v[14:15] offset:1200
	s_and_saveexec_b64 s[0:1], vcc
	s_cbranch_execz .LBB0_17
; %bb.16:
	s_movk_i32 s3, 0xe1
	v_pk_mul_f32 v[14:15], v[16:17], v[2:3] op_sel:[0,1]
	v_mad_legacy_u16 v22, v65, s3, v66
	v_pk_mul_f32 v[20:21], v[18:19], v[4:5] op_sel:[0,1]
	v_lshlrev_b32_e32 v33, 3, v22
	v_pk_fma_f32 v[22:23], v[16:17], v[4:5], v[14:15] op_sel:[0,0,1] op_sel_hi:[1,1,0]
	v_pk_fma_f32 v[4:5], v[16:17], v[4:5], v[14:15] op_sel:[0,0,1] op_sel_hi:[1,0,0] neg_lo:[1,0,0] neg_hi:[1,0,0]
	s_nop 0
	v_mov_b32_e32 v23, v5
	v_pk_fma_f32 v[4:5], v[18:19], v[2:3], v[20:21] op_sel:[0,0,1] op_sel_hi:[1,1,0]
	v_pk_fma_f32 v[2:3], v[18:19], v[2:3], v[20:21] op_sel:[0,0,1] op_sel_hi:[1,0,0] neg_lo:[1,0,0] neg_hi:[1,0,0]
	s_nop 0
	v_mov_b32_e32 v5, v3
	v_pk_add_f32 v[2:3], v[22:23], v[4:5]
	v_pk_add_f32 v[14:15], v[22:23], v[4:5] neg_lo:[0,1] neg_hi:[0,1]
	v_pk_fma_f32 v[2:3], -0.5, v[2:3], v[0:1] op_sel_hi:[0,1,1]
	v_pk_mul_f32 v[14:15], v[14:15], s[2:3] op_sel_hi:[1,0]
	v_pk_add_f32 v[0:1], v[0:1], v[22:23]
	v_pk_add_f32 v[16:17], v[2:3], v[14:15] op_sel:[0,1] op_sel_hi:[1,0]
	v_pk_add_f32 v[2:3], v[2:3], v[14:15] op_sel:[0,1] op_sel_hi:[1,0] neg_lo:[0,1] neg_hi:[0,1]
	v_pk_add_f32 v[0:1], v[0:1], v[4:5]
	v_mov_b32_e32 v4, v2
	v_mov_b32_e32 v5, v17
	;; [unrolled: 1-line block ×3, first 2 shown]
	ds_write2_b64 v33, v[0:1], v[4:5] offset1:75
	ds_write_b64 v33, v[16:17] offset:1200
.LBB0_17:
	s_or_b64 exec, exec, s[0:1]
	s_waitcnt lgkmcnt(0)
	s_barrier
	ds_read2_b64 v[0:3], v32 offset1:225
	v_add_u32_e32 v33, 0xe00, v32
	ds_read2_b64 v[14:17], v33 offset0:2 offset1:227
	ds_read_b64 v[20:21], v32 offset:7200
	v_mad_u64_u32 v[18:19], s[0:1], s6, v34, 0
	s_waitcnt lgkmcnt(2)
	v_pk_mul_f32 v[22:23], v[28:29], v[2:3]
	s_mov_b32 s0, 0x3f737871
	v_pk_fma_f32 v[28:29], v[12:13], v[2:3], v[22:23] op_sel:[0,0,1] op_sel_hi:[1,1,0]
	v_pk_fma_f32 v[2:3], v[12:13], v[2:3], v[22:23] op_sel:[0,0,1] op_sel_hi:[1,1,0] neg_lo:[0,0,1] neg_hi:[0,0,1]
	s_mov_b32 s2, 0x3f167918
	v_mov_b32_e32 v29, v3
	s_waitcnt lgkmcnt(1)
	v_pk_mul_f32 v[2:3], v[30:31], v[14:15]
	s_mov_b32 s6, 0x3e9e377a
	v_pk_fma_f32 v[12:13], v[10:11], v[14:15], v[2:3] op_sel:[0,0,1] op_sel_hi:[1,1,0]
	v_pk_fma_f32 v[2:3], v[10:11], v[14:15], v[2:3] op_sel:[0,0,1] op_sel_hi:[1,1,0] neg_lo:[0,0,1] neg_hi:[0,0,1]
	v_mov_b32_e32 v4, s12
	v_mov_b32_e32 v13, v3
	v_pk_mul_f32 v[2:3], v[24:25], v[16:17]
	v_pk_add_f32 v[24:25], v[28:29], v[12:13] neg_lo:[0,1] neg_hi:[0,1]
	v_pk_fma_f32 v[10:11], v[8:9], v[16:17], v[2:3] op_sel:[0,0,1] op_sel_hi:[1,1,0]
	v_pk_fma_f32 v[2:3], v[8:9], v[16:17], v[2:3] op_sel:[0,0,1] op_sel_hi:[1,1,0] neg_lo:[0,0,1] neg_hi:[0,0,1]
	v_mov_b32_e32 v5, s13
	v_mov_b32_e32 v11, v3
	s_waitcnt lgkmcnt(0)
	v_pk_mul_f32 v[2:3], v[26:27], v[20:21]
	s_nop 0
	v_pk_fma_f32 v[8:9], v[6:7], v[20:21], v[2:3] op_sel:[0,0,1] op_sel_hi:[1,1,0]
	v_pk_fma_f32 v[2:3], v[6:7], v[20:21], v[2:3] op_sel:[0,0,1] op_sel_hi:[1,1,0] neg_lo:[0,0,1] neg_hi:[0,0,1]
	v_pk_add_f32 v[6:7], v[12:13], v[10:11]
	v_mov_b32_e32 v9, v3
	v_pk_add_f32 v[14:15], v[28:29], v[8:9] neg_lo:[0,1] neg_hi:[0,1]
	v_pk_fma_f32 v[6:7], v[6:7], 0.5, v[0:1] op_sel_hi:[1,0,1] neg_lo:[1,0,0] neg_hi:[1,0,0]
	v_pk_mul_f32 v[16:17], v[14:15], s[0:1] op_sel_hi:[1,0]
	v_pk_add_f32 v[20:21], v[12:13], v[10:11] neg_lo:[0,1] neg_hi:[0,1]
	v_pk_add_f32 v[26:27], v[8:9], v[10:11] neg_lo:[0,1] neg_hi:[0,1]
	v_pk_add_f32 v[2:3], v[0:1], v[28:29]
	v_pk_mul_f32 v[22:23], v[20:21], s[2:3] op_sel_hi:[1,0]
	v_pk_add_f32 v[24:25], v[24:25], v[26:27]
	v_pk_add_f32 v[26:27], v[6:7], v[16:17] op_sel:[0,1] op_sel_hi:[1,0] neg_lo:[0,1] neg_hi:[0,1]
	v_pk_add_f32 v[6:7], v[6:7], v[16:17] op_sel:[0,1] op_sel_hi:[1,0]
	v_pk_add_f32 v[2:3], v[2:3], v[12:13]
	v_pk_add_f32 v[6:7], v[6:7], v[22:23] op_sel:[0,1] op_sel_hi:[1,0]
	v_pk_add_f32 v[16:17], v[26:27], v[22:23] op_sel:[0,1] op_sel_hi:[1,0] neg_lo:[0,1] neg_hi:[0,1]
	v_pk_add_f32 v[2:3], v[2:3], v[10:11]
	v_mov_b32_e32 v22, v16
	v_mov_b32_e32 v23, v7
	v_pk_add_f32 v[2:3], v[2:3], v[8:9]
	v_pk_fma_f32 v[22:23], v[24:25], s[6:7], v[22:23] op_sel_hi:[1,0,1]
	ds_write2_b64 v32, v[2:3], v[22:23] offset1:225
	v_pk_add_f32 v[2:3], v[28:29], v[8:9]
	v_pk_add_f32 v[8:9], v[10:11], v[8:9] neg_lo:[0,1] neg_hi:[0,1]
	v_pk_fma_f32 v[0:1], v[2:3], 0.5, v[0:1] op_sel_hi:[1,0,1] neg_lo:[1,0,0] neg_hi:[1,0,0]
	v_pk_add_f32 v[2:3], v[12:13], v[28:29] neg_lo:[0,1] neg_hi:[0,1]
	v_pk_mul_f32 v[10:11], v[14:15], s[2:3] op_sel_hi:[1,0]
	v_pk_add_f32 v[2:3], v[2:3], v[8:9]
	v_pk_mul_f32 v[8:9], v[20:21], s[0:1] op_sel_hi:[1,0]
	v_mov_b32_e32 v7, v17
	v_pk_add_f32 v[12:13], v[0:1], v[8:9] op_sel:[0,1] op_sel_hi:[1,0]
	v_pk_add_f32 v[0:1], v[0:1], v[8:9] op_sel:[0,1] op_sel_hi:[1,0] neg_lo:[0,1] neg_hi:[0,1]
	v_pk_add_f32 v[8:9], v[12:13], v[10:11] op_sel:[0,1] op_sel_hi:[1,0] neg_lo:[0,1] neg_hi:[0,1]
	v_pk_add_f32 v[0:1], v[0:1], v[10:11] op_sel:[0,1] op_sel_hi:[1,0]
	v_mov_b32_e32 v10, v8
	v_mov_b32_e32 v11, v1
	;; [unrolled: 1-line block ×3, first 2 shown]
	v_pk_fma_f32 v[10:11], v[2:3], s[6:7], v[10:11] op_sel_hi:[1,0,1]
	v_pk_fma_f32 v[0:1], v[2:3], s[6:7], v[0:1] op_sel_hi:[1,0,1]
	ds_write2_b64 v33, v[10:11], v[0:1] offset0:2 offset1:227
	v_pk_fma_f32 v[0:1], v[24:25], s[6:7], v[6:7] op_sel_hi:[1,0,1]
	ds_write_b64 v32, v[0:1] offset:7200
	s_waitcnt lgkmcnt(0)
	s_barrier
	ds_read2_b64 v[0:3], v32 offset1:225
	v_mov_b32_e32 v6, v19
	v_mad_u64_u32 v[6:7], s[0:1], s7, v34, v[6:7]
	v_mov_b32_e32 v19, v6
	s_waitcnt lgkmcnt(0)
	v_mul_f32_e32 v6, v45, v1
	v_fmac_f32_e32 v6, v44, v0
	v_mul_f32_e32 v0, v45, v0
	s_mov_b32 s0, 0x5a912e32
	v_fma_f32 v0, v44, v1, -v0
	v_cvt_f64_f32_e32 v[6:7], v6
	s_mov_b32 s1, 0x3f4d208a
	v_cvt_f64_f32_e32 v[0:1], v0
	v_mul_f64 v[6:7], v[6:7], s[0:1]
	v_mul_f64 v[0:1], v[0:1], s[0:1]
	v_cvt_f32_f64_e32 v6, v[6:7]
	v_cvt_f32_f64_e32 v7, v[0:1]
	v_mad_u64_u32 v[0:1], s[2:3], s4, v60, 0
	v_mov_b32_e32 v8, v1
	v_mad_u64_u32 v[8:9], s[2:3], s5, v60, v[8:9]
	v_mov_b32_e32 v1, v8
	v_lshl_add_u64 v[4:5], v[18:19], 3, v[4:5]
	v_lshl_add_u64 v[4:5], v[0:1], 3, v[4:5]
	v_mul_f32_e32 v0, v43, v3
	v_fmac_f32_e32 v0, v42, v2
	v_cvt_f64_f32_e32 v[0:1], v0
	v_mul_f64 v[0:1], v[0:1], s[0:1]
	global_store_dwordx2 v[4:5], v[6:7], off
	v_cvt_f32_f64_e32 v6, v[0:1]
	v_mul_f32_e32 v0, v43, v2
	v_fma_f32 v0, v42, v3, -v0
	v_cvt_f64_f32_e32 v[0:1], v0
	v_mul_f64 v[0:1], v[0:1], s[0:1]
	v_cvt_f32_f64_e32 v7, v[0:1]
	ds_read2_b64 v[0:3], v33 offset0:2 offset1:227
	v_mov_b32_e32 v8, 0x708
	v_mad_u64_u32 v[4:5], s[2:3], s4, v8, v[4:5]
	s_mulk_i32 s5, 0x708
	v_add_u32_e32 v5, s5, v5
	global_store_dwordx2 v[4:5], v[6:7], off
	s_waitcnt lgkmcnt(0)
	v_mul_f32_e32 v6, v39, v1
	v_fmac_f32_e32 v6, v38, v0
	v_mul_f32_e32 v0, v39, v0
	v_fma_f32 v0, v38, v1, -v0
	v_cvt_f64_f32_e32 v[6:7], v6
	v_cvt_f64_f32_e32 v[0:1], v0
	v_mul_f64 v[6:7], v[6:7], s[0:1]
	v_mul_f64 v[0:1], v[0:1], s[0:1]
	v_cvt_f32_f64_e32 v6, v[6:7]
	v_cvt_f32_f64_e32 v7, v[0:1]
	v_mad_u64_u32 v[0:1], s[2:3], s4, v8, v[4:5]
	v_mul_f32_e32 v4, v41, v3
	v_fmac_f32_e32 v4, v40, v2
	v_mul_f32_e32 v2, v41, v2
	v_fma_f32 v2, v40, v3, -v2
	v_cvt_f64_f32_e32 v[4:5], v4
	v_cvt_f64_f32_e32 v[2:3], v2
	v_mul_f64 v[4:5], v[4:5], s[0:1]
	v_mul_f64 v[2:3], v[2:3], s[0:1]
	v_cvt_f32_f64_e32 v4, v[4:5]
	v_cvt_f32_f64_e32 v5, v[2:3]
	ds_read_b64 v[2:3], v32 offset:7200
	v_add_u32_e32 v1, s5, v1
	global_store_dwordx2 v[0:1], v[6:7], off
	v_mad_u64_u32 v[0:1], s[2:3], s4, v8, v[0:1]
	v_add_u32_e32 v1, s5, v1
	global_store_dwordx2 v[0:1], v[4:5], off
	s_waitcnt lgkmcnt(0)
	v_mul_f32_e32 v4, v37, v3
	v_fmac_f32_e32 v4, v36, v2
	v_mul_f32_e32 v2, v37, v2
	v_fma_f32 v2, v36, v3, -v2
	v_cvt_f64_f32_e32 v[4:5], v4
	v_cvt_f64_f32_e32 v[2:3], v2
	v_mul_f64 v[4:5], v[4:5], s[0:1]
	v_mul_f64 v[2:3], v[2:3], s[0:1]
	v_mad_u64_u32 v[0:1], s[0:1], s4, v8, v[0:1]
	v_cvt_f32_f64_e32 v4, v[4:5]
	v_cvt_f32_f64_e32 v5, v[2:3]
	v_add_u32_e32 v1, s5, v1
	global_store_dwordx2 v[0:1], v[4:5], off
.LBB0_18:
	s_endpgm
	.section	.rodata,"a",@progbits
	.p2align	6, 0x0
	.amdhsa_kernel bluestein_single_fwd_len1125_dim1_sp_op_CI_CI
		.amdhsa_group_segment_fixed_size 9000
		.amdhsa_private_segment_fixed_size 0
		.amdhsa_kernarg_size 104
		.amdhsa_user_sgpr_count 2
		.amdhsa_user_sgpr_dispatch_ptr 0
		.amdhsa_user_sgpr_queue_ptr 0
		.amdhsa_user_sgpr_kernarg_segment_ptr 1
		.amdhsa_user_sgpr_dispatch_id 0
		.amdhsa_user_sgpr_kernarg_preload_length 0
		.amdhsa_user_sgpr_kernarg_preload_offset 0
		.amdhsa_user_sgpr_private_segment_size 0
		.amdhsa_uses_dynamic_stack 0
		.amdhsa_enable_private_segment 0
		.amdhsa_system_sgpr_workgroup_id_x 1
		.amdhsa_system_sgpr_workgroup_id_y 0
		.amdhsa_system_sgpr_workgroup_id_z 0
		.amdhsa_system_sgpr_workgroup_info 0
		.amdhsa_system_vgpr_workitem_id 0
		.amdhsa_next_free_vgpr 96
		.amdhsa_next_free_sgpr 20
		.amdhsa_accum_offset 96
		.amdhsa_reserve_vcc 1
		.amdhsa_float_round_mode_32 0
		.amdhsa_float_round_mode_16_64 0
		.amdhsa_float_denorm_mode_32 3
		.amdhsa_float_denorm_mode_16_64 3
		.amdhsa_dx10_clamp 1
		.amdhsa_ieee_mode 1
		.amdhsa_fp16_overflow 0
		.amdhsa_tg_split 0
		.amdhsa_exception_fp_ieee_invalid_op 0
		.amdhsa_exception_fp_denorm_src 0
		.amdhsa_exception_fp_ieee_div_zero 0
		.amdhsa_exception_fp_ieee_overflow 0
		.amdhsa_exception_fp_ieee_underflow 0
		.amdhsa_exception_fp_ieee_inexact 0
		.amdhsa_exception_int_div_zero 0
	.end_amdhsa_kernel
	.text
.Lfunc_end0:
	.size	bluestein_single_fwd_len1125_dim1_sp_op_CI_CI, .Lfunc_end0-bluestein_single_fwd_len1125_dim1_sp_op_CI_CI
                                        ; -- End function
	.section	.AMDGPU.csdata,"",@progbits
; Kernel info:
; codeLenInByte = 6208
; NumSgprs: 26
; NumVgprs: 96
; NumAgprs: 0
; TotalNumVgprs: 96
; ScratchSize: 0
; MemoryBound: 0
; FloatMode: 240
; IeeeMode: 1
; LDSByteSize: 9000 bytes/workgroup (compile time only)
; SGPRBlocks: 3
; VGPRBlocks: 11
; NumSGPRsForWavesPerEU: 26
; NumVGPRsForWavesPerEU: 96
; AccumOffset: 96
; Occupancy: 5
; WaveLimiterHint : 1
; COMPUTE_PGM_RSRC2:SCRATCH_EN: 0
; COMPUTE_PGM_RSRC2:USER_SGPR: 2
; COMPUTE_PGM_RSRC2:TRAP_HANDLER: 0
; COMPUTE_PGM_RSRC2:TGID_X_EN: 1
; COMPUTE_PGM_RSRC2:TGID_Y_EN: 0
; COMPUTE_PGM_RSRC2:TGID_Z_EN: 0
; COMPUTE_PGM_RSRC2:TIDIG_COMP_CNT: 0
; COMPUTE_PGM_RSRC3_GFX90A:ACCUM_OFFSET: 23
; COMPUTE_PGM_RSRC3_GFX90A:TG_SPLIT: 0
	.text
	.p2alignl 6, 3212836864
	.fill 256, 4, 3212836864
	.type	__hip_cuid_638c826236215d68,@object ; @__hip_cuid_638c826236215d68
	.section	.bss,"aw",@nobits
	.globl	__hip_cuid_638c826236215d68
__hip_cuid_638c826236215d68:
	.byte	0                               ; 0x0
	.size	__hip_cuid_638c826236215d68, 1

	.ident	"AMD clang version 19.0.0git (https://github.com/RadeonOpenCompute/llvm-project roc-6.4.0 25133 c7fe45cf4b819c5991fe208aaa96edf142730f1d)"
	.section	".note.GNU-stack","",@progbits
	.addrsig
	.addrsig_sym __hip_cuid_638c826236215d68
	.amdgpu_metadata
---
amdhsa.kernels:
  - .agpr_count:     0
    .args:
      - .actual_access:  read_only
        .address_space:  global
        .offset:         0
        .size:           8
        .value_kind:     global_buffer
      - .actual_access:  read_only
        .address_space:  global
        .offset:         8
        .size:           8
        .value_kind:     global_buffer
      - .actual_access:  read_only
        .address_space:  global
        .offset:         16
        .size:           8
        .value_kind:     global_buffer
      - .actual_access:  read_only
        .address_space:  global
        .offset:         24
        .size:           8
        .value_kind:     global_buffer
      - .actual_access:  read_only
        .address_space:  global
        .offset:         32
        .size:           8
        .value_kind:     global_buffer
      - .offset:         40
        .size:           8
        .value_kind:     by_value
      - .address_space:  global
        .offset:         48
        .size:           8
        .value_kind:     global_buffer
      - .address_space:  global
        .offset:         56
        .size:           8
        .value_kind:     global_buffer
      - .address_space:  global
        .offset:         64
        .size:           8
        .value_kind:     global_buffer
      - .address_space:  global
        .offset:         72
        .size:           8
        .value_kind:     global_buffer
      - .offset:         80
        .size:           4
        .value_kind:     by_value
      - .address_space:  global
        .offset:         88
        .size:           8
        .value_kind:     global_buffer
      - .address_space:  global
        .offset:         96
        .size:           8
        .value_kind:     global_buffer
    .group_segment_fixed_size: 9000
    .kernarg_segment_align: 8
    .kernarg_segment_size: 104
    .language:       OpenCL C
    .language_version:
      - 2
      - 0
    .max_flat_workgroup_size: 225
    .name:           bluestein_single_fwd_len1125_dim1_sp_op_CI_CI
    .private_segment_fixed_size: 0
    .sgpr_count:     26
    .sgpr_spill_count: 0
    .symbol:         bluestein_single_fwd_len1125_dim1_sp_op_CI_CI.kd
    .uniform_work_group_size: 1
    .uses_dynamic_stack: false
    .vgpr_count:     96
    .vgpr_spill_count: 0
    .wavefront_size: 64
amdhsa.target:   amdgcn-amd-amdhsa--gfx950
amdhsa.version:
  - 1
  - 2
...

	.end_amdgpu_metadata
